;; amdgpu-corpus repo=zjin-lcf/HeCBench kind=compiled arch=gfx906 opt=O3
	.amdgcn_target "amdgcn-amd-amdhsa--gfx906"
	.amdhsa_code_object_version 6
	.text
	.protected	_Z6mv_csrmPKmS0_PKfS2_Pf ; -- Begin function _Z6mv_csrmPKmS0_PKfS2_Pf
	.globl	_Z6mv_csrmPKmS0_PKfS2_Pf
	.p2align	8
	.type	_Z6mv_csrmPKmS0_PKfS2_Pf,@function
_Z6mv_csrmPKmS0_PKfS2_Pf:               ; @_Z6mv_csrmPKmS0_PKfS2_Pf
; %bb.0:
	s_load_dword s0, s[4:5], 0x3c
	s_load_dwordx8 s[8:15], s[4:5], 0x0
	v_mov_b32_e32 v10, 0
	v_mov_b32_e32 v5, v10
	s_waitcnt lgkmcnt(0)
	s_and_b32 s0, s0, 0xffff
	s_mul_i32 s6, s6, s0
	v_add_u32_e32 v4, s6, v0
	v_cmp_gt_u64_e32 vcc, s[8:9], v[4:5]
	s_and_saveexec_b64 s[0:1], vcc
	s_cbranch_execz .LBB0_6
; %bb.1:
	v_lshlrev_b64 v[0:1], 3, v[4:5]
	v_mov_b32_e32 v2, s11
	v_add_co_u32_e32 v0, vcc, s10, v0
	v_addc_co_u32_e32 v1, vcc, v2, v1, vcc
	global_load_dwordx4 v[0:3], v[0:1], off
	s_load_dwordx4 s[4:7], s[4:5], 0x20
	s_waitcnt vmcnt(0)
	v_cmp_lt_u64_e32 vcc, v[0:1], v[2:3]
	s_and_saveexec_b64 s[2:3], vcc
	s_cbranch_execz .LBB0_5
; %bb.2:
	v_lshlrev_b64 v[6:7], 3, v[0:1]
	v_mov_b32_e32 v8, s13
	v_add_co_u32_e32 v6, vcc, s12, v6
	v_addc_co_u32_e32 v7, vcc, v8, v7, vcc
	v_lshlrev_b64 v[8:9], 2, v[0:1]
	v_mov_b32_e32 v10, s15
	v_add_co_u32_e32 v8, vcc, s14, v8
	v_addc_co_u32_e32 v9, vcc, v10, v9, vcc
	v_mov_b32_e32 v10, 0
	s_mov_b64 s[8:9], 0
	s_waitcnt lgkmcnt(0)
	v_mov_b32_e32 v11, s5
.LBB0_3:                                ; =>This Inner Loop Header: Depth=1
	global_load_dwordx2 v[12:13], v[6:7], off
	global_load_dword v14, v[8:9], off
	s_waitcnt vmcnt(1)
	v_lshlrev_b64 v[12:13], 2, v[12:13]
	v_add_co_u32_e32 v12, vcc, s4, v12
	v_addc_co_u32_e32 v13, vcc, v11, v13, vcc
	global_load_dword v12, v[12:13], off
	v_add_co_u32_e32 v0, vcc, 1, v0
	v_addc_co_u32_e32 v1, vcc, 0, v1, vcc
	v_add_co_u32_e32 v6, vcc, 8, v6
	v_addc_co_u32_e32 v7, vcc, 0, v7, vcc
	v_cmp_ge_u64_e64 s[0:1], v[0:1], v[2:3]
	v_add_co_u32_e32 v8, vcc, 4, v8
	v_addc_co_u32_e32 v9, vcc, 0, v9, vcc
	s_or_b64 s[8:9], s[0:1], s[8:9]
	s_waitcnt vmcnt(0)
	v_fmac_f32_e32 v10, v14, v12
	s_andn2_b64 exec, exec, s[8:9]
	s_cbranch_execnz .LBB0_3
; %bb.4:
	s_or_b64 exec, exec, s[8:9]
.LBB0_5:
	s_or_b64 exec, exec, s[2:3]
	v_lshlrev_b64 v[0:1], 2, v[4:5]
	s_waitcnt lgkmcnt(0)
	v_mov_b32_e32 v2, s7
	v_add_co_u32_e32 v0, vcc, s6, v0
	v_addc_co_u32_e32 v1, vcc, v2, v1, vcc
	global_store_dword v[0:1], v10, off
.LBB0_6:
	s_endpgm
	.section	.rodata,"a",@progbits
	.p2align	6, 0x0
	.amdhsa_kernel _Z6mv_csrmPKmS0_PKfS2_Pf
		.amdhsa_group_segment_fixed_size 0
		.amdhsa_private_segment_fixed_size 0
		.amdhsa_kernarg_size 304
		.amdhsa_user_sgpr_count 6
		.amdhsa_user_sgpr_private_segment_buffer 1
		.amdhsa_user_sgpr_dispatch_ptr 0
		.amdhsa_user_sgpr_queue_ptr 0
		.amdhsa_user_sgpr_kernarg_segment_ptr 1
		.amdhsa_user_sgpr_dispatch_id 0
		.amdhsa_user_sgpr_flat_scratch_init 0
		.amdhsa_user_sgpr_private_segment_size 0
		.amdhsa_uses_dynamic_stack 0
		.amdhsa_system_sgpr_private_segment_wavefront_offset 0
		.amdhsa_system_sgpr_workgroup_id_x 1
		.amdhsa_system_sgpr_workgroup_id_y 0
		.amdhsa_system_sgpr_workgroup_id_z 0
		.amdhsa_system_sgpr_workgroup_info 0
		.amdhsa_system_vgpr_workitem_id 0
		.amdhsa_next_free_vgpr 15
		.amdhsa_next_free_sgpr 16
		.amdhsa_reserve_vcc 1
		.amdhsa_reserve_flat_scratch 0
		.amdhsa_float_round_mode_32 0
		.amdhsa_float_round_mode_16_64 0
		.amdhsa_float_denorm_mode_32 3
		.amdhsa_float_denorm_mode_16_64 3
		.amdhsa_dx10_clamp 1
		.amdhsa_ieee_mode 1
		.amdhsa_fp16_overflow 0
		.amdhsa_exception_fp_ieee_invalid_op 0
		.amdhsa_exception_fp_denorm_src 0
		.amdhsa_exception_fp_ieee_div_zero 0
		.amdhsa_exception_fp_ieee_overflow 0
		.amdhsa_exception_fp_ieee_underflow 0
		.amdhsa_exception_fp_ieee_inexact 0
		.amdhsa_exception_int_div_zero 0
	.end_amdhsa_kernel
	.text
.Lfunc_end0:
	.size	_Z6mv_csrmPKmS0_PKfS2_Pf, .Lfunc_end0-_Z6mv_csrmPKmS0_PKfS2_Pf
                                        ; -- End function
	.set _Z6mv_csrmPKmS0_PKfS2_Pf.num_vgpr, 15
	.set _Z6mv_csrmPKmS0_PKfS2_Pf.num_agpr, 0
	.set _Z6mv_csrmPKmS0_PKfS2_Pf.numbered_sgpr, 16
	.set _Z6mv_csrmPKmS0_PKfS2_Pf.num_named_barrier, 0
	.set _Z6mv_csrmPKmS0_PKfS2_Pf.private_seg_size, 0
	.set _Z6mv_csrmPKmS0_PKfS2_Pf.uses_vcc, 1
	.set _Z6mv_csrmPKmS0_PKfS2_Pf.uses_flat_scratch, 0
	.set _Z6mv_csrmPKmS0_PKfS2_Pf.has_dyn_sized_stack, 0
	.set _Z6mv_csrmPKmS0_PKfS2_Pf.has_recursion, 0
	.set _Z6mv_csrmPKmS0_PKfS2_Pf.has_indirect_call, 0
	.section	.AMDGPU.csdata,"",@progbits
; Kernel info:
; codeLenInByte = 304
; TotalNumSgprs: 20
; NumVgprs: 15
; ScratchSize: 0
; MemoryBound: 0
; FloatMode: 240
; IeeeMode: 1
; LDSByteSize: 0 bytes/workgroup (compile time only)
; SGPRBlocks: 2
; VGPRBlocks: 3
; NumSGPRsForWavesPerEU: 20
; NumVGPRsForWavesPerEU: 15
; Occupancy: 10
; WaveLimiterHint : 1
; COMPUTE_PGM_RSRC2:SCRATCH_EN: 0
; COMPUTE_PGM_RSRC2:USER_SGPR: 6
; COMPUTE_PGM_RSRC2:TRAP_HANDLER: 0
; COMPUTE_PGM_RSRC2:TGID_X_EN: 1
; COMPUTE_PGM_RSRC2:TGID_Y_EN: 0
; COMPUTE_PGM_RSRC2:TGID_Z_EN: 0
; COMPUTE_PGM_RSRC2:TIDIG_COMP_CNT: 0
	.text
	.protected	_Z8mv_densemPKfS0_Pf    ; -- Begin function _Z8mv_densemPKfS0_Pf
	.globl	_Z8mv_densemPKfS0_Pf
	.p2align	8
	.type	_Z8mv_densemPKfS0_Pf,@function
_Z8mv_densemPKfS0_Pf:                   ; @_Z8mv_densemPKfS0_Pf
; %bb.0:
	s_load_dword s0, s[4:5], 0x2c
	s_load_dwordx8 s[8:15], s[4:5], 0x0
	v_mov_b32_e32 v1, 0
	s_waitcnt lgkmcnt(0)
	s_and_b32 s0, s0, 0xffff
	s_mul_i32 s6, s6, s0
	v_add_u32_e32 v0, s6, v0
	v_cmp_gt_u64_e32 vcc, s[8:9], v[0:1]
	s_and_saveexec_b64 s[0:1], vcc
	s_cbranch_execz .LBB1_6
; %bb.1:
	v_mad_u64_u32 v[2:3], s[0:1], s8, v0, 0
	v_mad_u64_u32 v[3:4], s[0:1], s9, v0, v[3:4]
	v_mov_b32_e32 v4, s11
	v_lshlrev_b64 v[2:3], 2, v[2:3]
	v_add_co_u32_e32 v2, vcc, s10, v2
	v_addc_co_u32_e32 v3, vcc, v4, v3, vcc
	v_mov_b32_e32 v4, v1
	s_branch .LBB1_3
.LBB1_2:                                ;   in Loop: Header=BB1_3 Depth=1
	s_or_b64 exec, exec, s[0:1]
	s_add_u32 s8, s8, -1
	s_addc_u32 s9, s9, -1
	s_add_u32 s12, s12, 4
	s_addc_u32 s13, s13, 0
	v_add_co_u32_e32 v2, vcc, 4, v2
	s_cmp_eq_u64 s[8:9], 0
	v_addc_co_u32_e32 v3, vcc, 0, v3, vcc
	s_cbranch_scc1 .LBB1_5
.LBB1_3:                                ; =>This Inner Loop Header: Depth=1
	global_load_dword v5, v[2:3], off
	s_waitcnt vmcnt(0)
	v_cmp_neq_f32_e32 vcc, 0, v5
	s_and_saveexec_b64 s[0:1], vcc
	s_cbranch_execz .LBB1_2
; %bb.4:                                ;   in Loop: Header=BB1_3 Depth=1
	s_load_dword s2, s[12:13], 0x0
	s_waitcnt lgkmcnt(0)
	v_fmac_f32_e32 v4, s2, v5
	s_branch .LBB1_2
.LBB1_5:
	v_lshlrev_b64 v[0:1], 2, v[0:1]
	v_mov_b32_e32 v2, s15
	v_add_co_u32_e32 v0, vcc, s14, v0
	v_addc_co_u32_e32 v1, vcc, v2, v1, vcc
	global_store_dword v[0:1], v4, off
.LBB1_6:
	s_endpgm
	.section	.rodata,"a",@progbits
	.p2align	6, 0x0
	.amdhsa_kernel _Z8mv_densemPKfS0_Pf
		.amdhsa_group_segment_fixed_size 0
		.amdhsa_private_segment_fixed_size 0
		.amdhsa_kernarg_size 288
		.amdhsa_user_sgpr_count 6
		.amdhsa_user_sgpr_private_segment_buffer 1
		.amdhsa_user_sgpr_dispatch_ptr 0
		.amdhsa_user_sgpr_queue_ptr 0
		.amdhsa_user_sgpr_kernarg_segment_ptr 1
		.amdhsa_user_sgpr_dispatch_id 0
		.amdhsa_user_sgpr_flat_scratch_init 0
		.amdhsa_user_sgpr_private_segment_size 0
		.amdhsa_uses_dynamic_stack 0
		.amdhsa_system_sgpr_private_segment_wavefront_offset 0
		.amdhsa_system_sgpr_workgroup_id_x 1
		.amdhsa_system_sgpr_workgroup_id_y 0
		.amdhsa_system_sgpr_workgroup_id_z 0
		.amdhsa_system_sgpr_workgroup_info 0
		.amdhsa_system_vgpr_workitem_id 0
		.amdhsa_next_free_vgpr 6
		.amdhsa_next_free_sgpr 16
		.amdhsa_reserve_vcc 1
		.amdhsa_reserve_flat_scratch 0
		.amdhsa_float_round_mode_32 0
		.amdhsa_float_round_mode_16_64 0
		.amdhsa_float_denorm_mode_32 3
		.amdhsa_float_denorm_mode_16_64 3
		.amdhsa_dx10_clamp 1
		.amdhsa_ieee_mode 1
		.amdhsa_fp16_overflow 0
		.amdhsa_exception_fp_ieee_invalid_op 0
		.amdhsa_exception_fp_denorm_src 0
		.amdhsa_exception_fp_ieee_div_zero 0
		.amdhsa_exception_fp_ieee_overflow 0
		.amdhsa_exception_fp_ieee_underflow 0
		.amdhsa_exception_fp_ieee_inexact 0
		.amdhsa_exception_int_div_zero 0
	.end_amdhsa_kernel
	.text
.Lfunc_end1:
	.size	_Z8mv_densemPKfS0_Pf, .Lfunc_end1-_Z8mv_densemPKfS0_Pf
                                        ; -- End function
	.set _Z8mv_densemPKfS0_Pf.num_vgpr, 6
	.set _Z8mv_densemPKfS0_Pf.num_agpr, 0
	.set _Z8mv_densemPKfS0_Pf.numbered_sgpr, 16
	.set _Z8mv_densemPKfS0_Pf.num_named_barrier, 0
	.set _Z8mv_densemPKfS0_Pf.private_seg_size, 0
	.set _Z8mv_densemPKfS0_Pf.uses_vcc, 1
	.set _Z8mv_densemPKfS0_Pf.uses_flat_scratch, 0
	.set _Z8mv_densemPKfS0_Pf.has_dyn_sized_stack, 0
	.set _Z8mv_densemPKfS0_Pf.has_recursion, 0
	.set _Z8mv_densemPKfS0_Pf.has_indirect_call, 0
	.section	.AMDGPU.csdata,"",@progbits
; Kernel info:
; codeLenInByte = 208
; TotalNumSgprs: 20
; NumVgprs: 6
; ScratchSize: 0
; MemoryBound: 0
; FloatMode: 240
; IeeeMode: 1
; LDSByteSize: 0 bytes/workgroup (compile time only)
; SGPRBlocks: 2
; VGPRBlocks: 1
; NumSGPRsForWavesPerEU: 20
; NumVGPRsForWavesPerEU: 6
; Occupancy: 10
; WaveLimiterHint : 0
; COMPUTE_PGM_RSRC2:SCRATCH_EN: 0
; COMPUTE_PGM_RSRC2:USER_SGPR: 6
; COMPUTE_PGM_RSRC2:TRAP_HANDLER: 0
; COMPUTE_PGM_RSRC2:TGID_X_EN: 1
; COMPUTE_PGM_RSRC2:TGID_Y_EN: 0
; COMPUTE_PGM_RSRC2:TGID_Z_EN: 0
; COMPUTE_PGM_RSRC2:TIDIG_COMP_CNT: 0
	.section	.text._Z13vector_mv_csrILi2EEvmPKmS1_PKfS3_Pf,"axG",@progbits,_Z13vector_mv_csrILi2EEvmPKmS1_PKfS3_Pf,comdat
	.protected	_Z13vector_mv_csrILi2EEvmPKmS1_PKfS3_Pf ; -- Begin function _Z13vector_mv_csrILi2EEvmPKmS1_PKfS3_Pf
	.globl	_Z13vector_mv_csrILi2EEvmPKmS1_PKfS3_Pf
	.p2align	8
	.type	_Z13vector_mv_csrILi2EEvmPKmS1_PKfS3_Pf,@function
_Z13vector_mv_csrILi2EEvmPKmS1_PKfS3_Pf: ; @_Z13vector_mv_csrILi2EEvmPKmS1_PKfS3_Pf
; %bb.0:
	s_load_dword s0, s[4:5], 0x3c
	s_load_dwordx8 s[8:15], s[4:5], 0x0
	v_mov_b32_e32 v11, 0
	v_mov_b32_e32 v6, v11
	s_waitcnt lgkmcnt(0)
	s_lshr_b32 s0, s0, 16
	s_mul_i32 s6, s6, s0
	v_add_u32_e32 v5, s6, v1
	v_cmp_gt_u64_e32 vcc, s[8:9], v[5:6]
	s_and_saveexec_b64 s[0:1], vcc
	s_cbranch_execz .LBB2_6
; %bb.1:
	v_lshlrev_b64 v[1:2], 3, v[5:6]
	v_mov_b32_e32 v3, s11
	v_add_co_u32_e32 v1, vcc, s10, v1
	v_addc_co_u32_e32 v2, vcc, v3, v2, vcc
	global_load_dwordx4 v[1:4], v[1:2], off
	s_load_dwordx4 s[4:7], s[4:5], 0x20
	s_waitcnt vmcnt(0)
	v_add_co_u32_e32 v0, vcc, v1, v0
	v_addc_co_u32_e32 v1, vcc, 0, v2, vcc
	v_cmp_lt_u64_e32 vcc, v[0:1], v[3:4]
	s_and_saveexec_b64 s[2:3], vcc
	s_cbranch_execz .LBB2_5
; %bb.2:
	v_lshlrev_b64 v[7:8], 3, v[0:1]
	v_mov_b32_e32 v2, s13
	v_add_co_u32_e32 v7, vcc, s12, v7
	v_lshlrev_b64 v[9:10], 2, v[0:1]
	v_addc_co_u32_e32 v8, vcc, v2, v8, vcc
	v_mov_b32_e32 v2, s15
	v_add_co_u32_e32 v9, vcc, s14, v9
	v_addc_co_u32_e32 v10, vcc, v2, v10, vcc
	v_mov_b32_e32 v11, 0
	s_mov_b64 s[8:9], 0
	s_waitcnt lgkmcnt(0)
	v_mov_b32_e32 v2, s5
.LBB2_3:                                ; =>This Inner Loop Header: Depth=1
	global_load_dwordx2 v[12:13], v[7:8], off
	global_load_dword v14, v[9:10], off
	s_waitcnt vmcnt(1)
	v_lshlrev_b64 v[12:13], 2, v[12:13]
	v_add_co_u32_e32 v12, vcc, s4, v12
	v_addc_co_u32_e32 v13, vcc, v2, v13, vcc
	global_load_dword v12, v[12:13], off
	v_add_co_u32_e32 v0, vcc, 2, v0
	v_addc_co_u32_e32 v1, vcc, 0, v1, vcc
	v_add_co_u32_e32 v7, vcc, 16, v7
	v_addc_co_u32_e32 v8, vcc, 0, v8, vcc
	v_cmp_ge_u64_e64 s[0:1], v[0:1], v[3:4]
	v_add_co_u32_e32 v9, vcc, 8, v9
	v_addc_co_u32_e32 v10, vcc, 0, v10, vcc
	s_or_b64 s[8:9], s[0:1], s[8:9]
	s_waitcnt vmcnt(0)
	v_fmac_f32_e32 v11, v14, v12
	s_andn2_b64 exec, exec, s[8:9]
	s_cbranch_execnz .LBB2_3
; %bb.4:
	s_or_b64 exec, exec, s[8:9]
.LBB2_5:
	s_or_b64 exec, exec, s[2:3]
	v_mbcnt_lo_u32_b32 v0, -1, 0
	v_mbcnt_hi_u32_b32 v0, -1, v0
	v_lshl_or_b32 v0, v0, 2, 4
	ds_bpermute_b32 v2, v0, v11
	v_lshlrev_b64 v[0:1], 2, v[5:6]
	s_waitcnt lgkmcnt(0)
	v_mov_b32_e32 v3, s7
	v_add_co_u32_e32 v0, vcc, s6, v0
	v_add_f32_e32 v2, v11, v2
	v_addc_co_u32_e32 v1, vcc, v3, v1, vcc
	global_store_dword v[0:1], v2, off
.LBB2_6:
	s_endpgm
	.section	.rodata,"a",@progbits
	.p2align	6, 0x0
	.amdhsa_kernel _Z13vector_mv_csrILi2EEvmPKmS1_PKfS3_Pf
		.amdhsa_group_segment_fixed_size 0
		.amdhsa_private_segment_fixed_size 0
		.amdhsa_kernarg_size 304
		.amdhsa_user_sgpr_count 6
		.amdhsa_user_sgpr_private_segment_buffer 1
		.amdhsa_user_sgpr_dispatch_ptr 0
		.amdhsa_user_sgpr_queue_ptr 0
		.amdhsa_user_sgpr_kernarg_segment_ptr 1
		.amdhsa_user_sgpr_dispatch_id 0
		.amdhsa_user_sgpr_flat_scratch_init 0
		.amdhsa_user_sgpr_private_segment_size 0
		.amdhsa_uses_dynamic_stack 0
		.amdhsa_system_sgpr_private_segment_wavefront_offset 0
		.amdhsa_system_sgpr_workgroup_id_x 1
		.amdhsa_system_sgpr_workgroup_id_y 0
		.amdhsa_system_sgpr_workgroup_id_z 0
		.amdhsa_system_sgpr_workgroup_info 0
		.amdhsa_system_vgpr_workitem_id 1
		.amdhsa_next_free_vgpr 15
		.amdhsa_next_free_sgpr 16
		.amdhsa_reserve_vcc 1
		.amdhsa_reserve_flat_scratch 0
		.amdhsa_float_round_mode_32 0
		.amdhsa_float_round_mode_16_64 0
		.amdhsa_float_denorm_mode_32 3
		.amdhsa_float_denorm_mode_16_64 3
		.amdhsa_dx10_clamp 1
		.amdhsa_ieee_mode 1
		.amdhsa_fp16_overflow 0
		.amdhsa_exception_fp_ieee_invalid_op 0
		.amdhsa_exception_fp_denorm_src 0
		.amdhsa_exception_fp_ieee_div_zero 0
		.amdhsa_exception_fp_ieee_overflow 0
		.amdhsa_exception_fp_ieee_underflow 0
		.amdhsa_exception_fp_ieee_inexact 0
		.amdhsa_exception_int_div_zero 0
	.end_amdhsa_kernel
	.section	.text._Z13vector_mv_csrILi2EEvmPKmS1_PKfS3_Pf,"axG",@progbits,_Z13vector_mv_csrILi2EEvmPKmS1_PKfS3_Pf,comdat
.Lfunc_end2:
	.size	_Z13vector_mv_csrILi2EEvmPKmS1_PKfS3_Pf, .Lfunc_end2-_Z13vector_mv_csrILi2EEvmPKmS1_PKfS3_Pf
                                        ; -- End function
	.set _Z13vector_mv_csrILi2EEvmPKmS1_PKfS3_Pf.num_vgpr, 15
	.set _Z13vector_mv_csrILi2EEvmPKmS1_PKfS3_Pf.num_agpr, 0
	.set _Z13vector_mv_csrILi2EEvmPKmS1_PKfS3_Pf.numbered_sgpr, 16
	.set _Z13vector_mv_csrILi2EEvmPKmS1_PKfS3_Pf.num_named_barrier, 0
	.set _Z13vector_mv_csrILi2EEvmPKmS1_PKfS3_Pf.private_seg_size, 0
	.set _Z13vector_mv_csrILi2EEvmPKmS1_PKfS3_Pf.uses_vcc, 1
	.set _Z13vector_mv_csrILi2EEvmPKmS1_PKfS3_Pf.uses_flat_scratch, 0
	.set _Z13vector_mv_csrILi2EEvmPKmS1_PKfS3_Pf.has_dyn_sized_stack, 0
	.set _Z13vector_mv_csrILi2EEvmPKmS1_PKfS3_Pf.has_recursion, 0
	.set _Z13vector_mv_csrILi2EEvmPKmS1_PKfS3_Pf.has_indirect_call, 0
	.section	.AMDGPU.csdata,"",@progbits
; Kernel info:
; codeLenInByte = 344
; TotalNumSgprs: 20
; NumVgprs: 15
; ScratchSize: 0
; MemoryBound: 0
; FloatMode: 240
; IeeeMode: 1
; LDSByteSize: 0 bytes/workgroup (compile time only)
; SGPRBlocks: 2
; VGPRBlocks: 3
; NumSGPRsForWavesPerEU: 20
; NumVGPRsForWavesPerEU: 15
; Occupancy: 10
; WaveLimiterHint : 1
; COMPUTE_PGM_RSRC2:SCRATCH_EN: 0
; COMPUTE_PGM_RSRC2:USER_SGPR: 6
; COMPUTE_PGM_RSRC2:TRAP_HANDLER: 0
; COMPUTE_PGM_RSRC2:TGID_X_EN: 1
; COMPUTE_PGM_RSRC2:TGID_Y_EN: 0
; COMPUTE_PGM_RSRC2:TGID_Z_EN: 0
; COMPUTE_PGM_RSRC2:TIDIG_COMP_CNT: 1
	.section	.text._Z13vector_mv_csrILi4EEvmPKmS1_PKfS3_Pf,"axG",@progbits,_Z13vector_mv_csrILi4EEvmPKmS1_PKfS3_Pf,comdat
	.protected	_Z13vector_mv_csrILi4EEvmPKmS1_PKfS3_Pf ; -- Begin function _Z13vector_mv_csrILi4EEvmPKmS1_PKfS3_Pf
	.globl	_Z13vector_mv_csrILi4EEvmPKmS1_PKfS3_Pf
	.p2align	8
	.type	_Z13vector_mv_csrILi4EEvmPKmS1_PKfS3_Pf,@function
_Z13vector_mv_csrILi4EEvmPKmS1_PKfS3_Pf: ; @_Z13vector_mv_csrILi4EEvmPKmS1_PKfS3_Pf
; %bb.0:
	s_load_dword s0, s[4:5], 0x3c
	s_load_dwordx8 s[8:15], s[4:5], 0x0
	v_mov_b32_e32 v11, 0
	v_mov_b32_e32 v6, v11
	s_waitcnt lgkmcnt(0)
	s_lshr_b32 s0, s0, 16
	s_mul_i32 s6, s6, s0
	v_add_u32_e32 v5, s6, v1
	v_cmp_gt_u64_e32 vcc, s[8:9], v[5:6]
	s_and_saveexec_b64 s[0:1], vcc
	s_cbranch_execz .LBB3_6
; %bb.1:
	v_lshlrev_b64 v[1:2], 3, v[5:6]
	v_mov_b32_e32 v3, s11
	v_add_co_u32_e32 v1, vcc, s10, v1
	v_addc_co_u32_e32 v2, vcc, v3, v2, vcc
	global_load_dwordx4 v[1:4], v[1:2], off
	s_load_dwordx4 s[4:7], s[4:5], 0x20
	s_waitcnt vmcnt(0)
	v_add_co_u32_e32 v0, vcc, v1, v0
	v_addc_co_u32_e32 v1, vcc, 0, v2, vcc
	v_cmp_lt_u64_e32 vcc, v[0:1], v[3:4]
	s_and_saveexec_b64 s[2:3], vcc
	s_cbranch_execz .LBB3_5
; %bb.2:
	v_lshlrev_b64 v[7:8], 3, v[0:1]
	v_mov_b32_e32 v2, s13
	v_add_co_u32_e32 v7, vcc, s12, v7
	v_lshlrev_b64 v[9:10], 2, v[0:1]
	v_addc_co_u32_e32 v8, vcc, v2, v8, vcc
	v_mov_b32_e32 v2, s15
	v_add_co_u32_e32 v9, vcc, s14, v9
	v_addc_co_u32_e32 v10, vcc, v2, v10, vcc
	v_mov_b32_e32 v11, 0
	s_mov_b64 s[8:9], 0
	s_waitcnt lgkmcnt(0)
	v_mov_b32_e32 v2, s5
.LBB3_3:                                ; =>This Inner Loop Header: Depth=1
	global_load_dwordx2 v[12:13], v[7:8], off
	global_load_dword v14, v[9:10], off
	s_waitcnt vmcnt(1)
	v_lshlrev_b64 v[12:13], 2, v[12:13]
	v_add_co_u32_e32 v12, vcc, s4, v12
	v_addc_co_u32_e32 v13, vcc, v2, v13, vcc
	global_load_dword v12, v[12:13], off
	v_add_co_u32_e32 v0, vcc, 4, v0
	v_addc_co_u32_e32 v1, vcc, 0, v1, vcc
	v_add_co_u32_e32 v7, vcc, 32, v7
	v_addc_co_u32_e32 v8, vcc, 0, v8, vcc
	v_cmp_ge_u64_e64 s[0:1], v[0:1], v[3:4]
	v_add_co_u32_e32 v9, vcc, 16, v9
	v_addc_co_u32_e32 v10, vcc, 0, v10, vcc
	s_or_b64 s[8:9], s[0:1], s[8:9]
	s_waitcnt vmcnt(0)
	v_fmac_f32_e32 v11, v14, v12
	s_andn2_b64 exec, exec, s[8:9]
	s_cbranch_execnz .LBB3_3
; %bb.4:
	s_or_b64 exec, exec, s[8:9]
.LBB3_5:
	s_or_b64 exec, exec, s[2:3]
	v_mbcnt_lo_u32_b32 v0, -1, 0
	v_mbcnt_hi_u32_b32 v0, -1, v0
	v_lshl_or_b32 v1, v0, 2, 8
	ds_bpermute_b32 v1, v1, v11
	v_and_b32_e32 v2, 3, v0
	v_cmp_ne_u32_e32 vcc, 3, v2
	v_addc_co_u32_e32 v0, vcc, 0, v0, vcc
	s_waitcnt lgkmcnt(0)
	v_add_f32_e32 v2, v11, v1
	v_lshlrev_b32_e32 v0, 2, v0
	ds_bpermute_b32 v3, v0, v2
	v_lshlrev_b64 v[0:1], 2, v[5:6]
	v_mov_b32_e32 v4, s7
	v_add_co_u32_e32 v0, vcc, s6, v0
	s_waitcnt lgkmcnt(0)
	v_add_f32_e32 v2, v2, v3
	v_addc_co_u32_e32 v1, vcc, v4, v1, vcc
	global_store_dword v[0:1], v2, off
.LBB3_6:
	s_endpgm
	.section	.rodata,"a",@progbits
	.p2align	6, 0x0
	.amdhsa_kernel _Z13vector_mv_csrILi4EEvmPKmS1_PKfS3_Pf
		.amdhsa_group_segment_fixed_size 0
		.amdhsa_private_segment_fixed_size 0
		.amdhsa_kernarg_size 304
		.amdhsa_user_sgpr_count 6
		.amdhsa_user_sgpr_private_segment_buffer 1
		.amdhsa_user_sgpr_dispatch_ptr 0
		.amdhsa_user_sgpr_queue_ptr 0
		.amdhsa_user_sgpr_kernarg_segment_ptr 1
		.amdhsa_user_sgpr_dispatch_id 0
		.amdhsa_user_sgpr_flat_scratch_init 0
		.amdhsa_user_sgpr_private_segment_size 0
		.amdhsa_uses_dynamic_stack 0
		.amdhsa_system_sgpr_private_segment_wavefront_offset 0
		.amdhsa_system_sgpr_workgroup_id_x 1
		.amdhsa_system_sgpr_workgroup_id_y 0
		.amdhsa_system_sgpr_workgroup_id_z 0
		.amdhsa_system_sgpr_workgroup_info 0
		.amdhsa_system_vgpr_workitem_id 1
		.amdhsa_next_free_vgpr 15
		.amdhsa_next_free_sgpr 16
		.amdhsa_reserve_vcc 1
		.amdhsa_reserve_flat_scratch 0
		.amdhsa_float_round_mode_32 0
		.amdhsa_float_round_mode_16_64 0
		.amdhsa_float_denorm_mode_32 3
		.amdhsa_float_denorm_mode_16_64 3
		.amdhsa_dx10_clamp 1
		.amdhsa_ieee_mode 1
		.amdhsa_fp16_overflow 0
		.amdhsa_exception_fp_ieee_invalid_op 0
		.amdhsa_exception_fp_denorm_src 0
		.amdhsa_exception_fp_ieee_div_zero 0
		.amdhsa_exception_fp_ieee_overflow 0
		.amdhsa_exception_fp_ieee_underflow 0
		.amdhsa_exception_fp_ieee_inexact 0
		.amdhsa_exception_int_div_zero 0
	.end_amdhsa_kernel
	.section	.text._Z13vector_mv_csrILi4EEvmPKmS1_PKfS3_Pf,"axG",@progbits,_Z13vector_mv_csrILi4EEvmPKmS1_PKfS3_Pf,comdat
.Lfunc_end3:
	.size	_Z13vector_mv_csrILi4EEvmPKmS1_PKfS3_Pf, .Lfunc_end3-_Z13vector_mv_csrILi4EEvmPKmS1_PKfS3_Pf
                                        ; -- End function
	.set _Z13vector_mv_csrILi4EEvmPKmS1_PKfS3_Pf.num_vgpr, 15
	.set _Z13vector_mv_csrILi4EEvmPKmS1_PKfS3_Pf.num_agpr, 0
	.set _Z13vector_mv_csrILi4EEvmPKmS1_PKfS3_Pf.numbered_sgpr, 16
	.set _Z13vector_mv_csrILi4EEvmPKmS1_PKfS3_Pf.num_named_barrier, 0
	.set _Z13vector_mv_csrILi4EEvmPKmS1_PKfS3_Pf.private_seg_size, 0
	.set _Z13vector_mv_csrILi4EEvmPKmS1_PKfS3_Pf.uses_vcc, 1
	.set _Z13vector_mv_csrILi4EEvmPKmS1_PKfS3_Pf.uses_flat_scratch, 0
	.set _Z13vector_mv_csrILi4EEvmPKmS1_PKfS3_Pf.has_dyn_sized_stack, 0
	.set _Z13vector_mv_csrILi4EEvmPKmS1_PKfS3_Pf.has_recursion, 0
	.set _Z13vector_mv_csrILi4EEvmPKmS1_PKfS3_Pf.has_indirect_call, 0
	.section	.AMDGPU.csdata,"",@progbits
; Kernel info:
; codeLenInByte = 376
; TotalNumSgprs: 20
; NumVgprs: 15
; ScratchSize: 0
; MemoryBound: 0
; FloatMode: 240
; IeeeMode: 1
; LDSByteSize: 0 bytes/workgroup (compile time only)
; SGPRBlocks: 2
; VGPRBlocks: 3
; NumSGPRsForWavesPerEU: 20
; NumVGPRsForWavesPerEU: 15
; Occupancy: 10
; WaveLimiterHint : 1
; COMPUTE_PGM_RSRC2:SCRATCH_EN: 0
; COMPUTE_PGM_RSRC2:USER_SGPR: 6
; COMPUTE_PGM_RSRC2:TRAP_HANDLER: 0
; COMPUTE_PGM_RSRC2:TGID_X_EN: 1
; COMPUTE_PGM_RSRC2:TGID_Y_EN: 0
; COMPUTE_PGM_RSRC2:TGID_Z_EN: 0
; COMPUTE_PGM_RSRC2:TIDIG_COMP_CNT: 1
	.section	.text._Z13vector_mv_csrILi8EEvmPKmS1_PKfS3_Pf,"axG",@progbits,_Z13vector_mv_csrILi8EEvmPKmS1_PKfS3_Pf,comdat
	.protected	_Z13vector_mv_csrILi8EEvmPKmS1_PKfS3_Pf ; -- Begin function _Z13vector_mv_csrILi8EEvmPKmS1_PKfS3_Pf
	.globl	_Z13vector_mv_csrILi8EEvmPKmS1_PKfS3_Pf
	.p2align	8
	.type	_Z13vector_mv_csrILi8EEvmPKmS1_PKfS3_Pf,@function
_Z13vector_mv_csrILi8EEvmPKmS1_PKfS3_Pf: ; @_Z13vector_mv_csrILi8EEvmPKmS1_PKfS3_Pf
; %bb.0:
	s_load_dword s0, s[4:5], 0x3c
	s_load_dwordx8 s[8:15], s[4:5], 0x0
	v_mov_b32_e32 v11, 0
	v_mov_b32_e32 v6, v11
	s_waitcnt lgkmcnt(0)
	s_lshr_b32 s0, s0, 16
	s_mul_i32 s6, s6, s0
	v_add_u32_e32 v5, s6, v1
	v_cmp_gt_u64_e32 vcc, s[8:9], v[5:6]
	s_and_saveexec_b64 s[0:1], vcc
	s_cbranch_execz .LBB4_6
; %bb.1:
	v_lshlrev_b64 v[1:2], 3, v[5:6]
	v_mov_b32_e32 v3, s11
	v_add_co_u32_e32 v1, vcc, s10, v1
	v_addc_co_u32_e32 v2, vcc, v3, v2, vcc
	global_load_dwordx4 v[1:4], v[1:2], off
	s_load_dwordx4 s[4:7], s[4:5], 0x20
	s_waitcnt vmcnt(0)
	v_add_co_u32_e32 v0, vcc, v1, v0
	v_addc_co_u32_e32 v1, vcc, 0, v2, vcc
	v_cmp_lt_u64_e32 vcc, v[0:1], v[3:4]
	s_and_saveexec_b64 s[2:3], vcc
	s_cbranch_execz .LBB4_5
; %bb.2:
	v_lshlrev_b64 v[7:8], 3, v[0:1]
	v_mov_b32_e32 v2, s13
	v_add_co_u32_e32 v7, vcc, s12, v7
	v_lshlrev_b64 v[9:10], 2, v[0:1]
	v_addc_co_u32_e32 v8, vcc, v2, v8, vcc
	v_mov_b32_e32 v2, s15
	v_add_co_u32_e32 v9, vcc, s14, v9
	v_addc_co_u32_e32 v10, vcc, v2, v10, vcc
	v_mov_b32_e32 v11, 0
	s_mov_b64 s[8:9], 0
	s_waitcnt lgkmcnt(0)
	v_mov_b32_e32 v2, s5
.LBB4_3:                                ; =>This Inner Loop Header: Depth=1
	global_load_dwordx2 v[12:13], v[7:8], off
	global_load_dword v14, v[9:10], off
	s_waitcnt vmcnt(1)
	v_lshlrev_b64 v[12:13], 2, v[12:13]
	v_add_co_u32_e32 v12, vcc, s4, v12
	v_addc_co_u32_e32 v13, vcc, v2, v13, vcc
	global_load_dword v12, v[12:13], off
	v_add_co_u32_e32 v0, vcc, 8, v0
	v_addc_co_u32_e32 v1, vcc, 0, v1, vcc
	v_add_co_u32_e32 v7, vcc, 64, v7
	v_addc_co_u32_e32 v8, vcc, 0, v8, vcc
	v_cmp_ge_u64_e64 s[0:1], v[0:1], v[3:4]
	v_add_co_u32_e32 v9, vcc, 32, v9
	v_addc_co_u32_e32 v10, vcc, 0, v10, vcc
	s_or_b64 s[8:9], s[0:1], s[8:9]
	s_waitcnt vmcnt(0)
	v_fmac_f32_e32 v11, v14, v12
	s_andn2_b64 exec, exec, s[8:9]
	s_cbranch_execnz .LBB4_3
; %bb.4:
	s_or_b64 exec, exec, s[8:9]
.LBB4_5:
	s_or_b64 exec, exec, s[2:3]
	v_mbcnt_lo_u32_b32 v0, -1, 0
	v_mbcnt_hi_u32_b32 v0, -1, v0
	v_lshl_or_b32 v1, v0, 2, 16
	ds_bpermute_b32 v1, v1, v11
	v_and_b32_e32 v2, 7, v0
	v_cmp_gt_u32_e32 vcc, 6, v2
	v_cndmask_b32_e64 v3, 0, 2, vcc
	v_add_lshl_u32 v3, v3, v0, 2
	s_waitcnt lgkmcnt(0)
	v_add_f32_e32 v1, v11, v1
	ds_bpermute_b32 v3, v3, v1
	v_cmp_ne_u32_e32 vcc, 7, v2
	v_addc_co_u32_e32 v0, vcc, 0, v0, vcc
	v_lshlrev_b32_e32 v0, 2, v0
	s_waitcnt lgkmcnt(0)
	v_add_f32_e32 v2, v1, v3
	ds_bpermute_b32 v3, v0, v2
	v_lshlrev_b64 v[0:1], 2, v[5:6]
	v_mov_b32_e32 v4, s7
	v_add_co_u32_e32 v0, vcc, s6, v0
	s_waitcnt lgkmcnt(0)
	v_add_f32_e32 v2, v2, v3
	v_addc_co_u32_e32 v1, vcc, v4, v1, vcc
	global_store_dword v[0:1], v2, off
.LBB4_6:
	s_endpgm
	.section	.rodata,"a",@progbits
	.p2align	6, 0x0
	.amdhsa_kernel _Z13vector_mv_csrILi8EEvmPKmS1_PKfS3_Pf
		.amdhsa_group_segment_fixed_size 0
		.amdhsa_private_segment_fixed_size 0
		.amdhsa_kernarg_size 304
		.amdhsa_user_sgpr_count 6
		.amdhsa_user_sgpr_private_segment_buffer 1
		.amdhsa_user_sgpr_dispatch_ptr 0
		.amdhsa_user_sgpr_queue_ptr 0
		.amdhsa_user_sgpr_kernarg_segment_ptr 1
		.amdhsa_user_sgpr_dispatch_id 0
		.amdhsa_user_sgpr_flat_scratch_init 0
		.amdhsa_user_sgpr_private_segment_size 0
		.amdhsa_uses_dynamic_stack 0
		.amdhsa_system_sgpr_private_segment_wavefront_offset 0
		.amdhsa_system_sgpr_workgroup_id_x 1
		.amdhsa_system_sgpr_workgroup_id_y 0
		.amdhsa_system_sgpr_workgroup_id_z 0
		.amdhsa_system_sgpr_workgroup_info 0
		.amdhsa_system_vgpr_workitem_id 1
		.amdhsa_next_free_vgpr 15
		.amdhsa_next_free_sgpr 16
		.amdhsa_reserve_vcc 1
		.amdhsa_reserve_flat_scratch 0
		.amdhsa_float_round_mode_32 0
		.amdhsa_float_round_mode_16_64 0
		.amdhsa_float_denorm_mode_32 3
		.amdhsa_float_denorm_mode_16_64 3
		.amdhsa_dx10_clamp 1
		.amdhsa_ieee_mode 1
		.amdhsa_fp16_overflow 0
		.amdhsa_exception_fp_ieee_invalid_op 0
		.amdhsa_exception_fp_denorm_src 0
		.amdhsa_exception_fp_ieee_div_zero 0
		.amdhsa_exception_fp_ieee_overflow 0
		.amdhsa_exception_fp_ieee_underflow 0
		.amdhsa_exception_fp_ieee_inexact 0
		.amdhsa_exception_int_div_zero 0
	.end_amdhsa_kernel
	.section	.text._Z13vector_mv_csrILi8EEvmPKmS1_PKfS3_Pf,"axG",@progbits,_Z13vector_mv_csrILi8EEvmPKmS1_PKfS3_Pf,comdat
.Lfunc_end4:
	.size	_Z13vector_mv_csrILi8EEvmPKmS1_PKfS3_Pf, .Lfunc_end4-_Z13vector_mv_csrILi8EEvmPKmS1_PKfS3_Pf
                                        ; -- End function
	.set _Z13vector_mv_csrILi8EEvmPKmS1_PKfS3_Pf.num_vgpr, 15
	.set _Z13vector_mv_csrILi8EEvmPKmS1_PKfS3_Pf.num_agpr, 0
	.set _Z13vector_mv_csrILi8EEvmPKmS1_PKfS3_Pf.numbered_sgpr, 16
	.set _Z13vector_mv_csrILi8EEvmPKmS1_PKfS3_Pf.num_named_barrier, 0
	.set _Z13vector_mv_csrILi8EEvmPKmS1_PKfS3_Pf.private_seg_size, 0
	.set _Z13vector_mv_csrILi8EEvmPKmS1_PKfS3_Pf.uses_vcc, 1
	.set _Z13vector_mv_csrILi8EEvmPKmS1_PKfS3_Pf.uses_flat_scratch, 0
	.set _Z13vector_mv_csrILi8EEvmPKmS1_PKfS3_Pf.has_dyn_sized_stack, 0
	.set _Z13vector_mv_csrILi8EEvmPKmS1_PKfS3_Pf.has_recursion, 0
	.set _Z13vector_mv_csrILi8EEvmPKmS1_PKfS3_Pf.has_indirect_call, 0
	.section	.AMDGPU.csdata,"",@progbits
; Kernel info:
; codeLenInByte = 412
; TotalNumSgprs: 20
; NumVgprs: 15
; ScratchSize: 0
; MemoryBound: 0
; FloatMode: 240
; IeeeMode: 1
; LDSByteSize: 0 bytes/workgroup (compile time only)
; SGPRBlocks: 2
; VGPRBlocks: 3
; NumSGPRsForWavesPerEU: 20
; NumVGPRsForWavesPerEU: 15
; Occupancy: 10
; WaveLimiterHint : 1
; COMPUTE_PGM_RSRC2:SCRATCH_EN: 0
; COMPUTE_PGM_RSRC2:USER_SGPR: 6
; COMPUTE_PGM_RSRC2:TRAP_HANDLER: 0
; COMPUTE_PGM_RSRC2:TGID_X_EN: 1
; COMPUTE_PGM_RSRC2:TGID_Y_EN: 0
; COMPUTE_PGM_RSRC2:TGID_Z_EN: 0
; COMPUTE_PGM_RSRC2:TIDIG_COMP_CNT: 1
	.section	.text._Z13vector_mv_csrILi16EEvmPKmS1_PKfS3_Pf,"axG",@progbits,_Z13vector_mv_csrILi16EEvmPKmS1_PKfS3_Pf,comdat
	.protected	_Z13vector_mv_csrILi16EEvmPKmS1_PKfS3_Pf ; -- Begin function _Z13vector_mv_csrILi16EEvmPKmS1_PKfS3_Pf
	.globl	_Z13vector_mv_csrILi16EEvmPKmS1_PKfS3_Pf
	.p2align	8
	.type	_Z13vector_mv_csrILi16EEvmPKmS1_PKfS3_Pf,@function
_Z13vector_mv_csrILi16EEvmPKmS1_PKfS3_Pf: ; @_Z13vector_mv_csrILi16EEvmPKmS1_PKfS3_Pf
; %bb.0:
	s_load_dword s0, s[4:5], 0x3c
	s_load_dwordx8 s[8:15], s[4:5], 0x0
	v_mov_b32_e32 v11, 0
	v_mov_b32_e32 v6, v11
	s_waitcnt lgkmcnt(0)
	s_lshr_b32 s0, s0, 16
	s_mul_i32 s6, s6, s0
	v_add_u32_e32 v5, s6, v1
	v_cmp_gt_u64_e32 vcc, s[8:9], v[5:6]
	s_and_saveexec_b64 s[0:1], vcc
	s_cbranch_execz .LBB5_6
; %bb.1:
	v_lshlrev_b64 v[1:2], 3, v[5:6]
	v_mov_b32_e32 v3, s11
	v_add_co_u32_e32 v1, vcc, s10, v1
	v_addc_co_u32_e32 v2, vcc, v3, v2, vcc
	global_load_dwordx4 v[1:4], v[1:2], off
	s_load_dwordx4 s[4:7], s[4:5], 0x20
	s_waitcnt vmcnt(0)
	v_add_co_u32_e32 v0, vcc, v1, v0
	v_addc_co_u32_e32 v1, vcc, 0, v2, vcc
	v_cmp_lt_u64_e32 vcc, v[0:1], v[3:4]
	s_and_saveexec_b64 s[2:3], vcc
	s_cbranch_execz .LBB5_5
; %bb.2:
	v_lshlrev_b64 v[7:8], 3, v[0:1]
	v_mov_b32_e32 v2, s13
	v_add_co_u32_e32 v7, vcc, s12, v7
	v_lshlrev_b64 v[9:10], 2, v[0:1]
	v_addc_co_u32_e32 v8, vcc, v2, v8, vcc
	v_mov_b32_e32 v2, s15
	v_add_co_u32_e32 v9, vcc, s14, v9
	v_addc_co_u32_e32 v10, vcc, v2, v10, vcc
	v_mov_b32_e32 v11, 0
	s_mov_b64 s[8:9], 0
	s_waitcnt lgkmcnt(0)
	v_mov_b32_e32 v2, s5
.LBB5_3:                                ; =>This Inner Loop Header: Depth=1
	global_load_dwordx2 v[12:13], v[7:8], off
	global_load_dword v14, v[9:10], off
	v_add_co_u32_e64 v9, s[0:1], 64, v9
	v_addc_co_u32_e64 v10, s[0:1], 0, v10, s[0:1]
	s_waitcnt vmcnt(1)
	v_lshlrev_b64 v[12:13], 2, v[12:13]
	v_add_co_u32_e32 v12, vcc, s4, v12
	v_addc_co_u32_e32 v13, vcc, v2, v13, vcc
	global_load_dword v12, v[12:13], off
	v_add_co_u32_e32 v0, vcc, 16, v0
	v_addc_co_u32_e32 v1, vcc, 0, v1, vcc
	v_cmp_ge_u64_e64 s[0:1], v[0:1], v[3:4]
	v_add_co_u32_e32 v7, vcc, 0x80, v7
	v_addc_co_u32_e32 v8, vcc, 0, v8, vcc
	s_or_b64 s[8:9], s[0:1], s[8:9]
	s_waitcnt vmcnt(0)
	v_fmac_f32_e32 v11, v14, v12
	s_andn2_b64 exec, exec, s[8:9]
	s_cbranch_execnz .LBB5_3
; %bb.4:
	s_or_b64 exec, exec, s[8:9]
.LBB5_5:
	s_or_b64 exec, exec, s[2:3]
	v_mbcnt_lo_u32_b32 v0, -1, 0
	v_mbcnt_hi_u32_b32 v0, -1, v0
	v_lshl_or_b32 v1, v0, 2, 32
	ds_bpermute_b32 v1, v1, v11
	v_and_b32_e32 v2, 15, v0
	v_cmp_gt_u32_e32 vcc, 12, v2
	v_cndmask_b32_e64 v3, 0, 4, vcc
	v_add_lshl_u32 v3, v3, v0, 2
	s_waitcnt lgkmcnt(0)
	v_add_f32_e32 v1, v11, v1
	ds_bpermute_b32 v3, v3, v1
	v_cmp_gt_u32_e32 vcc, 14, v2
	v_cndmask_b32_e64 v4, 0, 2, vcc
	v_add_lshl_u32 v4, v4, v0, 2
	v_cmp_ne_u32_e32 vcc, 15, v2
	s_waitcnt lgkmcnt(0)
	v_add_f32_e32 v1, v1, v3
	ds_bpermute_b32 v3, v4, v1
	v_addc_co_u32_e32 v0, vcc, 0, v0, vcc
	v_lshlrev_b32_e32 v0, 2, v0
	v_mov_b32_e32 v4, s7
	s_waitcnt lgkmcnt(0)
	v_add_f32_e32 v2, v1, v3
	ds_bpermute_b32 v3, v0, v2
	v_lshlrev_b64 v[0:1], 2, v[5:6]
	v_add_co_u32_e32 v0, vcc, s6, v0
	s_waitcnt lgkmcnt(0)
	v_add_f32_e32 v2, v2, v3
	v_addc_co_u32_e32 v1, vcc, v4, v1, vcc
	global_store_dword v[0:1], v2, off
.LBB5_6:
	s_endpgm
	.section	.rodata,"a",@progbits
	.p2align	6, 0x0
	.amdhsa_kernel _Z13vector_mv_csrILi16EEvmPKmS1_PKfS3_Pf
		.amdhsa_group_segment_fixed_size 0
		.amdhsa_private_segment_fixed_size 0
		.amdhsa_kernarg_size 304
		.amdhsa_user_sgpr_count 6
		.amdhsa_user_sgpr_private_segment_buffer 1
		.amdhsa_user_sgpr_dispatch_ptr 0
		.amdhsa_user_sgpr_queue_ptr 0
		.amdhsa_user_sgpr_kernarg_segment_ptr 1
		.amdhsa_user_sgpr_dispatch_id 0
		.amdhsa_user_sgpr_flat_scratch_init 0
		.amdhsa_user_sgpr_private_segment_size 0
		.amdhsa_uses_dynamic_stack 0
		.amdhsa_system_sgpr_private_segment_wavefront_offset 0
		.amdhsa_system_sgpr_workgroup_id_x 1
		.amdhsa_system_sgpr_workgroup_id_y 0
		.amdhsa_system_sgpr_workgroup_id_z 0
		.amdhsa_system_sgpr_workgroup_info 0
		.amdhsa_system_vgpr_workitem_id 1
		.amdhsa_next_free_vgpr 15
		.amdhsa_next_free_sgpr 16
		.amdhsa_reserve_vcc 1
		.amdhsa_reserve_flat_scratch 0
		.amdhsa_float_round_mode_32 0
		.amdhsa_float_round_mode_16_64 0
		.amdhsa_float_denorm_mode_32 3
		.amdhsa_float_denorm_mode_16_64 3
		.amdhsa_dx10_clamp 1
		.amdhsa_ieee_mode 1
		.amdhsa_fp16_overflow 0
		.amdhsa_exception_fp_ieee_invalid_op 0
		.amdhsa_exception_fp_denorm_src 0
		.amdhsa_exception_fp_ieee_div_zero 0
		.amdhsa_exception_fp_ieee_overflow 0
		.amdhsa_exception_fp_ieee_underflow 0
		.amdhsa_exception_fp_ieee_inexact 0
		.amdhsa_exception_int_div_zero 0
	.end_amdhsa_kernel
	.section	.text._Z13vector_mv_csrILi16EEvmPKmS1_PKfS3_Pf,"axG",@progbits,_Z13vector_mv_csrILi16EEvmPKmS1_PKfS3_Pf,comdat
.Lfunc_end5:
	.size	_Z13vector_mv_csrILi16EEvmPKmS1_PKfS3_Pf, .Lfunc_end5-_Z13vector_mv_csrILi16EEvmPKmS1_PKfS3_Pf
                                        ; -- End function
	.set _Z13vector_mv_csrILi16EEvmPKmS1_PKfS3_Pf.num_vgpr, 15
	.set _Z13vector_mv_csrILi16EEvmPKmS1_PKfS3_Pf.num_agpr, 0
	.set _Z13vector_mv_csrILi16EEvmPKmS1_PKfS3_Pf.numbered_sgpr, 16
	.set _Z13vector_mv_csrILi16EEvmPKmS1_PKfS3_Pf.num_named_barrier, 0
	.set _Z13vector_mv_csrILi16EEvmPKmS1_PKfS3_Pf.private_seg_size, 0
	.set _Z13vector_mv_csrILi16EEvmPKmS1_PKfS3_Pf.uses_vcc, 1
	.set _Z13vector_mv_csrILi16EEvmPKmS1_PKfS3_Pf.uses_flat_scratch, 0
	.set _Z13vector_mv_csrILi16EEvmPKmS1_PKfS3_Pf.has_dyn_sized_stack, 0
	.set _Z13vector_mv_csrILi16EEvmPKmS1_PKfS3_Pf.has_recursion, 0
	.set _Z13vector_mv_csrILi16EEvmPKmS1_PKfS3_Pf.has_indirect_call, 0
	.section	.AMDGPU.csdata,"",@progbits
; Kernel info:
; codeLenInByte = 460
; TotalNumSgprs: 20
; NumVgprs: 15
; ScratchSize: 0
; MemoryBound: 0
; FloatMode: 240
; IeeeMode: 1
; LDSByteSize: 0 bytes/workgroup (compile time only)
; SGPRBlocks: 2
; VGPRBlocks: 3
; NumSGPRsForWavesPerEU: 20
; NumVGPRsForWavesPerEU: 15
; Occupancy: 10
; WaveLimiterHint : 1
; COMPUTE_PGM_RSRC2:SCRATCH_EN: 0
; COMPUTE_PGM_RSRC2:USER_SGPR: 6
; COMPUTE_PGM_RSRC2:TRAP_HANDLER: 0
; COMPUTE_PGM_RSRC2:TGID_X_EN: 1
; COMPUTE_PGM_RSRC2:TGID_Y_EN: 0
; COMPUTE_PGM_RSRC2:TGID_Z_EN: 0
; COMPUTE_PGM_RSRC2:TIDIG_COMP_CNT: 1
	.section	.text._Z13vector_mv_csrILi32EEvmPKmS1_PKfS3_Pf,"axG",@progbits,_Z13vector_mv_csrILi32EEvmPKmS1_PKfS3_Pf,comdat
	.protected	_Z13vector_mv_csrILi32EEvmPKmS1_PKfS3_Pf ; -- Begin function _Z13vector_mv_csrILi32EEvmPKmS1_PKfS3_Pf
	.globl	_Z13vector_mv_csrILi32EEvmPKmS1_PKfS3_Pf
	.p2align	8
	.type	_Z13vector_mv_csrILi32EEvmPKmS1_PKfS3_Pf,@function
_Z13vector_mv_csrILi32EEvmPKmS1_PKfS3_Pf: ; @_Z13vector_mv_csrILi32EEvmPKmS1_PKfS3_Pf
; %bb.0:
	s_load_dword s0, s[4:5], 0x3c
	s_load_dwordx8 s[8:15], s[4:5], 0x0
	v_mov_b32_e32 v11, 0
	v_mov_b32_e32 v6, v11
	s_waitcnt lgkmcnt(0)
	s_lshr_b32 s0, s0, 16
	s_mul_i32 s6, s6, s0
	v_add_u32_e32 v5, s6, v1
	v_cmp_gt_u64_e32 vcc, s[8:9], v[5:6]
	s_and_saveexec_b64 s[0:1], vcc
	s_cbranch_execz .LBB6_6
; %bb.1:
	v_lshlrev_b64 v[1:2], 3, v[5:6]
	v_mov_b32_e32 v3, s11
	v_add_co_u32_e32 v1, vcc, s10, v1
	v_addc_co_u32_e32 v2, vcc, v3, v2, vcc
	global_load_dwordx4 v[1:4], v[1:2], off
	s_load_dwordx4 s[4:7], s[4:5], 0x20
	s_waitcnt vmcnt(0)
	v_add_co_u32_e32 v0, vcc, v1, v0
	v_addc_co_u32_e32 v1, vcc, 0, v2, vcc
	v_cmp_lt_u64_e32 vcc, v[0:1], v[3:4]
	s_and_saveexec_b64 s[2:3], vcc
	s_cbranch_execz .LBB6_5
; %bb.2:
	v_lshlrev_b64 v[7:8], 3, v[0:1]
	v_mov_b32_e32 v2, s13
	v_add_co_u32_e32 v7, vcc, s12, v7
	v_lshlrev_b64 v[9:10], 2, v[0:1]
	v_addc_co_u32_e32 v8, vcc, v2, v8, vcc
	v_mov_b32_e32 v2, s15
	v_add_co_u32_e32 v9, vcc, s14, v9
	v_addc_co_u32_e32 v10, vcc, v2, v10, vcc
	v_mov_b32_e32 v11, 0
	s_mov_b64 s[8:9], 0
	s_waitcnt lgkmcnt(0)
	v_mov_b32_e32 v2, s5
.LBB6_3:                                ; =>This Inner Loop Header: Depth=1
	global_load_dwordx2 v[12:13], v[7:8], off
	global_load_dword v14, v[9:10], off
	s_waitcnt vmcnt(1)
	v_lshlrev_b64 v[12:13], 2, v[12:13]
	v_add_co_u32_e32 v12, vcc, s4, v12
	v_addc_co_u32_e32 v13, vcc, v2, v13, vcc
	global_load_dword v12, v[12:13], off
	v_add_co_u32_e32 v0, vcc, 32, v0
	v_addc_co_u32_e32 v1, vcc, 0, v1, vcc
	v_add_co_u32_e32 v7, vcc, 0x100, v7
	v_addc_co_u32_e32 v8, vcc, 0, v8, vcc
	v_cmp_ge_u64_e64 s[0:1], v[0:1], v[3:4]
	v_add_co_u32_e32 v9, vcc, 0x80, v9
	v_addc_co_u32_e32 v10, vcc, 0, v10, vcc
	s_or_b64 s[8:9], s[0:1], s[8:9]
	s_waitcnt vmcnt(0)
	v_fmac_f32_e32 v11, v14, v12
	s_andn2_b64 exec, exec, s[8:9]
	s_cbranch_execnz .LBB6_3
; %bb.4:
	s_or_b64 exec, exec, s[8:9]
.LBB6_5:
	s_or_b64 exec, exec, s[2:3]
	v_mbcnt_lo_u32_b32 v0, -1, 0
	v_mbcnt_hi_u32_b32 v0, -1, v0
	v_lshl_or_b32 v1, v0, 2, 64
	ds_bpermute_b32 v1, v1, v11
	v_and_b32_e32 v2, 31, v0
	v_cmp_gt_u32_e32 vcc, 24, v2
	v_cndmask_b32_e64 v3, 0, 8, vcc
	v_add_lshl_u32 v3, v3, v0, 2
	s_waitcnt lgkmcnt(0)
	v_add_f32_e32 v1, v11, v1
	ds_bpermute_b32 v3, v3, v1
	v_cmp_gt_u32_e32 vcc, 28, v2
	v_cndmask_b32_e64 v4, 0, 4, vcc
	v_add_lshl_u32 v4, v4, v0, 2
	v_cmp_gt_u32_e32 vcc, 30, v2
	s_waitcnt lgkmcnt(0)
	v_add_f32_e32 v1, v1, v3
	ds_bpermute_b32 v3, v4, v1
	v_cndmask_b32_e64 v4, 0, 2, vcc
	v_add_lshl_u32 v4, v4, v0, 2
	v_cmp_ne_u32_e32 vcc, 31, v2
	v_addc_co_u32_e32 v0, vcc, 0, v0, vcc
	s_waitcnt lgkmcnt(0)
	v_add_f32_e32 v1, v1, v3
	ds_bpermute_b32 v3, v4, v1
	v_lshlrev_b32_e32 v0, 2, v0
	v_mov_b32_e32 v4, s7
	s_waitcnt lgkmcnt(0)
	v_add_f32_e32 v2, v1, v3
	ds_bpermute_b32 v3, v0, v2
	v_lshlrev_b64 v[0:1], 2, v[5:6]
	v_add_co_u32_e32 v0, vcc, s6, v0
	s_waitcnt lgkmcnt(0)
	v_add_f32_e32 v2, v2, v3
	v_addc_co_u32_e32 v1, vcc, v4, v1, vcc
	global_store_dword v[0:1], v2, off
.LBB6_6:
	s_endpgm
	.section	.rodata,"a",@progbits
	.p2align	6, 0x0
	.amdhsa_kernel _Z13vector_mv_csrILi32EEvmPKmS1_PKfS3_Pf
		.amdhsa_group_segment_fixed_size 0
		.amdhsa_private_segment_fixed_size 0
		.amdhsa_kernarg_size 304
		.amdhsa_user_sgpr_count 6
		.amdhsa_user_sgpr_private_segment_buffer 1
		.amdhsa_user_sgpr_dispatch_ptr 0
		.amdhsa_user_sgpr_queue_ptr 0
		.amdhsa_user_sgpr_kernarg_segment_ptr 1
		.amdhsa_user_sgpr_dispatch_id 0
		.amdhsa_user_sgpr_flat_scratch_init 0
		.amdhsa_user_sgpr_private_segment_size 0
		.amdhsa_uses_dynamic_stack 0
		.amdhsa_system_sgpr_private_segment_wavefront_offset 0
		.amdhsa_system_sgpr_workgroup_id_x 1
		.amdhsa_system_sgpr_workgroup_id_y 0
		.amdhsa_system_sgpr_workgroup_id_z 0
		.amdhsa_system_sgpr_workgroup_info 0
		.amdhsa_system_vgpr_workitem_id 1
		.amdhsa_next_free_vgpr 15
		.amdhsa_next_free_sgpr 16
		.amdhsa_reserve_vcc 1
		.amdhsa_reserve_flat_scratch 0
		.amdhsa_float_round_mode_32 0
		.amdhsa_float_round_mode_16_64 0
		.amdhsa_float_denorm_mode_32 3
		.amdhsa_float_denorm_mode_16_64 3
		.amdhsa_dx10_clamp 1
		.amdhsa_ieee_mode 1
		.amdhsa_fp16_overflow 0
		.amdhsa_exception_fp_ieee_invalid_op 0
		.amdhsa_exception_fp_denorm_src 0
		.amdhsa_exception_fp_ieee_div_zero 0
		.amdhsa_exception_fp_ieee_overflow 0
		.amdhsa_exception_fp_ieee_underflow 0
		.amdhsa_exception_fp_ieee_inexact 0
		.amdhsa_exception_int_div_zero 0
	.end_amdhsa_kernel
	.section	.text._Z13vector_mv_csrILi32EEvmPKmS1_PKfS3_Pf,"axG",@progbits,_Z13vector_mv_csrILi32EEvmPKmS1_PKfS3_Pf,comdat
.Lfunc_end6:
	.size	_Z13vector_mv_csrILi32EEvmPKmS1_PKfS3_Pf, .Lfunc_end6-_Z13vector_mv_csrILi32EEvmPKmS1_PKfS3_Pf
                                        ; -- End function
	.set _Z13vector_mv_csrILi32EEvmPKmS1_PKfS3_Pf.num_vgpr, 15
	.set _Z13vector_mv_csrILi32EEvmPKmS1_PKfS3_Pf.num_agpr, 0
	.set _Z13vector_mv_csrILi32EEvmPKmS1_PKfS3_Pf.numbered_sgpr, 16
	.set _Z13vector_mv_csrILi32EEvmPKmS1_PKfS3_Pf.num_named_barrier, 0
	.set _Z13vector_mv_csrILi32EEvmPKmS1_PKfS3_Pf.private_seg_size, 0
	.set _Z13vector_mv_csrILi32EEvmPKmS1_PKfS3_Pf.uses_vcc, 1
	.set _Z13vector_mv_csrILi32EEvmPKmS1_PKfS3_Pf.uses_flat_scratch, 0
	.set _Z13vector_mv_csrILi32EEvmPKmS1_PKfS3_Pf.has_dyn_sized_stack, 0
	.set _Z13vector_mv_csrILi32EEvmPKmS1_PKfS3_Pf.has_recursion, 0
	.set _Z13vector_mv_csrILi32EEvmPKmS1_PKfS3_Pf.has_indirect_call, 0
	.section	.AMDGPU.csdata,"",@progbits
; Kernel info:
; codeLenInByte = 492
; TotalNumSgprs: 20
; NumVgprs: 15
; ScratchSize: 0
; MemoryBound: 0
; FloatMode: 240
; IeeeMode: 1
; LDSByteSize: 0 bytes/workgroup (compile time only)
; SGPRBlocks: 2
; VGPRBlocks: 3
; NumSGPRsForWavesPerEU: 20
; NumVGPRsForWavesPerEU: 15
; Occupancy: 10
; WaveLimiterHint : 1
; COMPUTE_PGM_RSRC2:SCRATCH_EN: 0
; COMPUTE_PGM_RSRC2:USER_SGPR: 6
; COMPUTE_PGM_RSRC2:TRAP_HANDLER: 0
; COMPUTE_PGM_RSRC2:TGID_X_EN: 1
; COMPUTE_PGM_RSRC2:TGID_Y_EN: 0
; COMPUTE_PGM_RSRC2:TGID_Z_EN: 0
; COMPUTE_PGM_RSRC2:TIDIG_COMP_CNT: 1
	.section	.text._Z13vector_mv_csrILi64EEvmPKmS1_PKfS3_Pf,"axG",@progbits,_Z13vector_mv_csrILi64EEvmPKmS1_PKfS3_Pf,comdat
	.protected	_Z13vector_mv_csrILi64EEvmPKmS1_PKfS3_Pf ; -- Begin function _Z13vector_mv_csrILi64EEvmPKmS1_PKfS3_Pf
	.globl	_Z13vector_mv_csrILi64EEvmPKmS1_PKfS3_Pf
	.p2align	8
	.type	_Z13vector_mv_csrILi64EEvmPKmS1_PKfS3_Pf,@function
_Z13vector_mv_csrILi64EEvmPKmS1_PKfS3_Pf: ; @_Z13vector_mv_csrILi64EEvmPKmS1_PKfS3_Pf
; %bb.0:
	s_load_dword s0, s[4:5], 0x3c
	s_load_dwordx8 s[8:15], s[4:5], 0x0
	v_mov_b32_e32 v11, 0
	v_mov_b32_e32 v6, v11
	s_waitcnt lgkmcnt(0)
	s_lshr_b32 s0, s0, 16
	s_mul_i32 s6, s6, s0
	v_add_u32_e32 v5, s6, v1
	v_cmp_gt_u64_e32 vcc, s[8:9], v[5:6]
	s_and_saveexec_b64 s[0:1], vcc
	s_cbranch_execz .LBB7_6
; %bb.1:
	v_lshlrev_b64 v[1:2], 3, v[5:6]
	v_mov_b32_e32 v3, s11
	v_add_co_u32_e32 v1, vcc, s10, v1
	v_addc_co_u32_e32 v2, vcc, v3, v2, vcc
	global_load_dwordx4 v[1:4], v[1:2], off
	s_load_dwordx4 s[4:7], s[4:5], 0x20
	s_waitcnt vmcnt(0)
	v_add_co_u32_e32 v0, vcc, v1, v0
	v_addc_co_u32_e32 v1, vcc, 0, v2, vcc
	v_cmp_lt_u64_e32 vcc, v[0:1], v[3:4]
	s_and_saveexec_b64 s[2:3], vcc
	s_cbranch_execz .LBB7_5
; %bb.2:
	v_lshlrev_b64 v[7:8], 3, v[0:1]
	v_mov_b32_e32 v2, s13
	v_add_co_u32_e32 v7, vcc, s12, v7
	v_lshlrev_b64 v[9:10], 2, v[0:1]
	v_addc_co_u32_e32 v8, vcc, v2, v8, vcc
	v_mov_b32_e32 v2, s15
	v_add_co_u32_e32 v9, vcc, s14, v9
	v_addc_co_u32_e32 v10, vcc, v2, v10, vcc
	v_mov_b32_e32 v11, 0
	s_mov_b64 s[8:9], 0
	s_waitcnt lgkmcnt(0)
	v_mov_b32_e32 v2, s5
.LBB7_3:                                ; =>This Inner Loop Header: Depth=1
	global_load_dwordx2 v[12:13], v[7:8], off
	global_load_dword v14, v[9:10], off
	s_waitcnt vmcnt(1)
	v_lshlrev_b64 v[12:13], 2, v[12:13]
	v_add_co_u32_e32 v12, vcc, s4, v12
	v_addc_co_u32_e32 v13, vcc, v2, v13, vcc
	global_load_dword v12, v[12:13], off
	v_add_co_u32_e32 v0, vcc, 64, v0
	v_addc_co_u32_e32 v1, vcc, 0, v1, vcc
	v_add_co_u32_e32 v7, vcc, 0x200, v7
	v_addc_co_u32_e32 v8, vcc, 0, v8, vcc
	v_cmp_ge_u64_e64 s[0:1], v[0:1], v[3:4]
	v_add_co_u32_e32 v9, vcc, 0x100, v9
	v_addc_co_u32_e32 v10, vcc, 0, v10, vcc
	s_or_b64 s[8:9], s[0:1], s[8:9]
	s_waitcnt vmcnt(0)
	v_fmac_f32_e32 v11, v14, v12
	s_andn2_b64 exec, exec, s[8:9]
	s_cbranch_execnz .LBB7_3
; %bb.4:
	s_or_b64 exec, exec, s[8:9]
.LBB7_5:
	s_or_b64 exec, exec, s[2:3]
	v_mbcnt_lo_u32_b32 v0, -1, 0
	v_mbcnt_hi_u32_b32 v0, -1, v0
	v_mov_b32_e32 v1, 0x80
	v_lshl_or_b32 v1, v0, 2, v1
	ds_bpermute_b32 v1, v1, v11
	v_and_b32_e32 v2, 63, v0
	v_cmp_gt_u32_e32 vcc, 48, v2
	v_cndmask_b32_e64 v3, 0, 16, vcc
	v_add_lshl_u32 v3, v3, v0, 2
	s_waitcnt lgkmcnt(0)
	v_add_f32_e32 v1, v11, v1
	ds_bpermute_b32 v3, v3, v1
	v_cmp_gt_u32_e32 vcc, 56, v2
	v_cndmask_b32_e64 v4, 0, 8, vcc
	v_add_lshl_u32 v4, v4, v0, 2
	v_cmp_gt_u32_e32 vcc, 60, v2
	s_waitcnt lgkmcnt(0)
	v_add_f32_e32 v1, v1, v3
	ds_bpermute_b32 v3, v4, v1
	v_cndmask_b32_e64 v4, 0, 4, vcc
	v_add_lshl_u32 v4, v4, v0, 2
	v_cmp_gt_u32_e32 vcc, 62, v2
	s_waitcnt lgkmcnt(0)
	v_add_f32_e32 v1, v1, v3
	ds_bpermute_b32 v3, v4, v1
	v_cndmask_b32_e64 v4, 0, 2, vcc
	v_add_lshl_u32 v4, v4, v0, 2
	v_cmp_ne_u32_e32 vcc, 63, v2
	v_addc_co_u32_e32 v0, vcc, 0, v0, vcc
	s_waitcnt lgkmcnt(0)
	v_add_f32_e32 v1, v1, v3
	ds_bpermute_b32 v3, v4, v1
	v_lshlrev_b32_e32 v0, 2, v0
	v_mov_b32_e32 v4, s7
	s_waitcnt lgkmcnt(0)
	v_add_f32_e32 v2, v1, v3
	ds_bpermute_b32 v3, v0, v2
	v_lshlrev_b64 v[0:1], 2, v[5:6]
	v_add_co_u32_e32 v0, vcc, s6, v0
	s_waitcnt lgkmcnt(0)
	v_add_f32_e32 v2, v2, v3
	v_addc_co_u32_e32 v1, vcc, v4, v1, vcc
	global_store_dword v[0:1], v2, off
.LBB7_6:
	s_endpgm
	.section	.rodata,"a",@progbits
	.p2align	6, 0x0
	.amdhsa_kernel _Z13vector_mv_csrILi64EEvmPKmS1_PKfS3_Pf
		.amdhsa_group_segment_fixed_size 0
		.amdhsa_private_segment_fixed_size 0
		.amdhsa_kernarg_size 304
		.amdhsa_user_sgpr_count 6
		.amdhsa_user_sgpr_private_segment_buffer 1
		.amdhsa_user_sgpr_dispatch_ptr 0
		.amdhsa_user_sgpr_queue_ptr 0
		.amdhsa_user_sgpr_kernarg_segment_ptr 1
		.amdhsa_user_sgpr_dispatch_id 0
		.amdhsa_user_sgpr_flat_scratch_init 0
		.amdhsa_user_sgpr_private_segment_size 0
		.amdhsa_uses_dynamic_stack 0
		.amdhsa_system_sgpr_private_segment_wavefront_offset 0
		.amdhsa_system_sgpr_workgroup_id_x 1
		.amdhsa_system_sgpr_workgroup_id_y 0
		.amdhsa_system_sgpr_workgroup_id_z 0
		.amdhsa_system_sgpr_workgroup_info 0
		.amdhsa_system_vgpr_workitem_id 1
		.amdhsa_next_free_vgpr 15
		.amdhsa_next_free_sgpr 16
		.amdhsa_reserve_vcc 1
		.amdhsa_reserve_flat_scratch 0
		.amdhsa_float_round_mode_32 0
		.amdhsa_float_round_mode_16_64 0
		.amdhsa_float_denorm_mode_32 3
		.amdhsa_float_denorm_mode_16_64 3
		.amdhsa_dx10_clamp 1
		.amdhsa_ieee_mode 1
		.amdhsa_fp16_overflow 0
		.amdhsa_exception_fp_ieee_invalid_op 0
		.amdhsa_exception_fp_denorm_src 0
		.amdhsa_exception_fp_ieee_div_zero 0
		.amdhsa_exception_fp_ieee_overflow 0
		.amdhsa_exception_fp_ieee_underflow 0
		.amdhsa_exception_fp_ieee_inexact 0
		.amdhsa_exception_int_div_zero 0
	.end_amdhsa_kernel
	.section	.text._Z13vector_mv_csrILi64EEvmPKmS1_PKfS3_Pf,"axG",@progbits,_Z13vector_mv_csrILi64EEvmPKmS1_PKfS3_Pf,comdat
.Lfunc_end7:
	.size	_Z13vector_mv_csrILi64EEvmPKmS1_PKfS3_Pf, .Lfunc_end7-_Z13vector_mv_csrILi64EEvmPKmS1_PKfS3_Pf
                                        ; -- End function
	.set _Z13vector_mv_csrILi64EEvmPKmS1_PKfS3_Pf.num_vgpr, 15
	.set _Z13vector_mv_csrILi64EEvmPKmS1_PKfS3_Pf.num_agpr, 0
	.set _Z13vector_mv_csrILi64EEvmPKmS1_PKfS3_Pf.numbered_sgpr, 16
	.set _Z13vector_mv_csrILi64EEvmPKmS1_PKfS3_Pf.num_named_barrier, 0
	.set _Z13vector_mv_csrILi64EEvmPKmS1_PKfS3_Pf.private_seg_size, 0
	.set _Z13vector_mv_csrILi64EEvmPKmS1_PKfS3_Pf.uses_vcc, 1
	.set _Z13vector_mv_csrILi64EEvmPKmS1_PKfS3_Pf.uses_flat_scratch, 0
	.set _Z13vector_mv_csrILi64EEvmPKmS1_PKfS3_Pf.has_dyn_sized_stack, 0
	.set _Z13vector_mv_csrILi64EEvmPKmS1_PKfS3_Pf.has_recursion, 0
	.set _Z13vector_mv_csrILi64EEvmPKmS1_PKfS3_Pf.has_indirect_call, 0
	.section	.AMDGPU.csdata,"",@progbits
; Kernel info:
; codeLenInByte = 536
; TotalNumSgprs: 20
; NumVgprs: 15
; ScratchSize: 0
; MemoryBound: 0
; FloatMode: 240
; IeeeMode: 1
; LDSByteSize: 0 bytes/workgroup (compile time only)
; SGPRBlocks: 2
; VGPRBlocks: 3
; NumSGPRsForWavesPerEU: 20
; NumVGPRsForWavesPerEU: 15
; Occupancy: 10
; WaveLimiterHint : 1
; COMPUTE_PGM_RSRC2:SCRATCH_EN: 0
; COMPUTE_PGM_RSRC2:USER_SGPR: 6
; COMPUTE_PGM_RSRC2:TRAP_HANDLER: 0
; COMPUTE_PGM_RSRC2:TGID_X_EN: 1
; COMPUTE_PGM_RSRC2:TGID_Y_EN: 0
; COMPUTE_PGM_RSRC2:TGID_Z_EN: 0
; COMPUTE_PGM_RSRC2:TIDIG_COMP_CNT: 1
	.section	.AMDGPU.gpr_maximums,"",@progbits
	.set amdgpu.max_num_vgpr, 0
	.set amdgpu.max_num_agpr, 0
	.set amdgpu.max_num_sgpr, 0
	.section	.AMDGPU.csdata,"",@progbits
	.type	__hip_cuid_c8b66d37a38c99f9,@object ; @__hip_cuid_c8b66d37a38c99f9
	.section	.bss,"aw",@nobits
	.globl	__hip_cuid_c8b66d37a38c99f9
__hip_cuid_c8b66d37a38c99f9:
	.byte	0                               ; 0x0
	.size	__hip_cuid_c8b66d37a38c99f9, 1

	.ident	"AMD clang version 22.0.0git (https://github.com/RadeonOpenCompute/llvm-project roc-7.2.4 26084 f58b06dce1f9c15707c5f808fd002e18c2accf7e)"
	.section	".note.GNU-stack","",@progbits
	.addrsig
	.addrsig_sym __hip_cuid_c8b66d37a38c99f9
	.amdgpu_metadata
---
amdhsa.kernels:
  - .args:
      - .offset:         0
        .size:           8
        .value_kind:     by_value
      - .address_space:  global
        .offset:         8
        .size:           8
        .value_kind:     global_buffer
      - .address_space:  global
        .offset:         16
        .size:           8
        .value_kind:     global_buffer
      - .address_space:  global
        .offset:         24
        .size:           8
        .value_kind:     global_buffer
      - .address_space:  global
        .offset:         32
        .size:           8
        .value_kind:     global_buffer
      - .address_space:  global
        .offset:         40
        .size:           8
        .value_kind:     global_buffer
      - .offset:         48
        .size:           4
        .value_kind:     hidden_block_count_x
      - .offset:         52
        .size:           4
        .value_kind:     hidden_block_count_y
      - .offset:         56
        .size:           4
        .value_kind:     hidden_block_count_z
      - .offset:         60
        .size:           2
        .value_kind:     hidden_group_size_x
      - .offset:         62
        .size:           2
        .value_kind:     hidden_group_size_y
      - .offset:         64
        .size:           2
        .value_kind:     hidden_group_size_z
      - .offset:         66
        .size:           2
        .value_kind:     hidden_remainder_x
      - .offset:         68
        .size:           2
        .value_kind:     hidden_remainder_y
      - .offset:         70
        .size:           2
        .value_kind:     hidden_remainder_z
      - .offset:         88
        .size:           8
        .value_kind:     hidden_global_offset_x
      - .offset:         96
        .size:           8
        .value_kind:     hidden_global_offset_y
      - .offset:         104
        .size:           8
        .value_kind:     hidden_global_offset_z
      - .offset:         112
        .size:           2
        .value_kind:     hidden_grid_dims
    .group_segment_fixed_size: 0
    .kernarg_segment_align: 8
    .kernarg_segment_size: 304
    .language:       OpenCL C
    .language_version:
      - 2
      - 0
    .max_flat_workgroup_size: 1024
    .name:           _Z6mv_csrmPKmS0_PKfS2_Pf
    .private_segment_fixed_size: 0
    .sgpr_count:     20
    .sgpr_spill_count: 0
    .symbol:         _Z6mv_csrmPKmS0_PKfS2_Pf.kd
    .uniform_work_group_size: 1
    .uses_dynamic_stack: false
    .vgpr_count:     15
    .vgpr_spill_count: 0
    .wavefront_size: 64
  - .args:
      - .offset:         0
        .size:           8
        .value_kind:     by_value
      - .address_space:  global
        .offset:         8
        .size:           8
        .value_kind:     global_buffer
      - .address_space:  global
        .offset:         16
        .size:           8
        .value_kind:     global_buffer
      - .address_space:  global
        .offset:         24
        .size:           8
        .value_kind:     global_buffer
      - .offset:         32
        .size:           4
        .value_kind:     hidden_block_count_x
      - .offset:         36
        .size:           4
        .value_kind:     hidden_block_count_y
      - .offset:         40
        .size:           4
        .value_kind:     hidden_block_count_z
      - .offset:         44
        .size:           2
        .value_kind:     hidden_group_size_x
      - .offset:         46
        .size:           2
        .value_kind:     hidden_group_size_y
      - .offset:         48
        .size:           2
        .value_kind:     hidden_group_size_z
      - .offset:         50
        .size:           2
        .value_kind:     hidden_remainder_x
      - .offset:         52
        .size:           2
        .value_kind:     hidden_remainder_y
      - .offset:         54
        .size:           2
        .value_kind:     hidden_remainder_z
      - .offset:         72
        .size:           8
        .value_kind:     hidden_global_offset_x
      - .offset:         80
        .size:           8
        .value_kind:     hidden_global_offset_y
      - .offset:         88
        .size:           8
        .value_kind:     hidden_global_offset_z
      - .offset:         96
        .size:           2
        .value_kind:     hidden_grid_dims
    .group_segment_fixed_size: 0
    .kernarg_segment_align: 8
    .kernarg_segment_size: 288
    .language:       OpenCL C
    .language_version:
      - 2
      - 0
    .max_flat_workgroup_size: 1024
    .name:           _Z8mv_densemPKfS0_Pf
    .private_segment_fixed_size: 0
    .sgpr_count:     20
    .sgpr_spill_count: 0
    .symbol:         _Z8mv_densemPKfS0_Pf.kd
    .uniform_work_group_size: 1
    .uses_dynamic_stack: false
    .vgpr_count:     6
    .vgpr_spill_count: 0
    .wavefront_size: 64
  - .args:
      - .offset:         0
        .size:           8
        .value_kind:     by_value
      - .address_space:  global
        .offset:         8
        .size:           8
        .value_kind:     global_buffer
      - .address_space:  global
        .offset:         16
        .size:           8
        .value_kind:     global_buffer
      - .address_space:  global
        .offset:         24
        .size:           8
        .value_kind:     global_buffer
      - .address_space:  global
        .offset:         32
        .size:           8
        .value_kind:     global_buffer
      - .address_space:  global
        .offset:         40
        .size:           8
        .value_kind:     global_buffer
      - .offset:         48
        .size:           4
        .value_kind:     hidden_block_count_x
      - .offset:         52
        .size:           4
        .value_kind:     hidden_block_count_y
      - .offset:         56
        .size:           4
        .value_kind:     hidden_block_count_z
      - .offset:         60
        .size:           2
        .value_kind:     hidden_group_size_x
      - .offset:         62
        .size:           2
        .value_kind:     hidden_group_size_y
      - .offset:         64
        .size:           2
        .value_kind:     hidden_group_size_z
      - .offset:         66
        .size:           2
        .value_kind:     hidden_remainder_x
      - .offset:         68
        .size:           2
        .value_kind:     hidden_remainder_y
      - .offset:         70
        .size:           2
        .value_kind:     hidden_remainder_z
      - .offset:         88
        .size:           8
        .value_kind:     hidden_global_offset_x
      - .offset:         96
        .size:           8
        .value_kind:     hidden_global_offset_y
      - .offset:         104
        .size:           8
        .value_kind:     hidden_global_offset_z
      - .offset:         112
        .size:           2
        .value_kind:     hidden_grid_dims
    .group_segment_fixed_size: 0
    .kernarg_segment_align: 8
    .kernarg_segment_size: 304
    .language:       OpenCL C
    .language_version:
      - 2
      - 0
    .max_flat_workgroup_size: 1024
    .name:           _Z13vector_mv_csrILi2EEvmPKmS1_PKfS3_Pf
    .private_segment_fixed_size: 0
    .sgpr_count:     20
    .sgpr_spill_count: 0
    .symbol:         _Z13vector_mv_csrILi2EEvmPKmS1_PKfS3_Pf.kd
    .uniform_work_group_size: 1
    .uses_dynamic_stack: false
    .vgpr_count:     15
    .vgpr_spill_count: 0
    .wavefront_size: 64
  - .args:
      - .offset:         0
        .size:           8
        .value_kind:     by_value
      - .address_space:  global
        .offset:         8
        .size:           8
        .value_kind:     global_buffer
      - .address_space:  global
        .offset:         16
        .size:           8
        .value_kind:     global_buffer
      - .address_space:  global
        .offset:         24
        .size:           8
        .value_kind:     global_buffer
      - .address_space:  global
        .offset:         32
        .size:           8
        .value_kind:     global_buffer
      - .address_space:  global
        .offset:         40
        .size:           8
        .value_kind:     global_buffer
      - .offset:         48
        .size:           4
        .value_kind:     hidden_block_count_x
      - .offset:         52
        .size:           4
        .value_kind:     hidden_block_count_y
      - .offset:         56
        .size:           4
        .value_kind:     hidden_block_count_z
      - .offset:         60
        .size:           2
        .value_kind:     hidden_group_size_x
      - .offset:         62
        .size:           2
        .value_kind:     hidden_group_size_y
      - .offset:         64
        .size:           2
        .value_kind:     hidden_group_size_z
      - .offset:         66
        .size:           2
        .value_kind:     hidden_remainder_x
      - .offset:         68
        .size:           2
        .value_kind:     hidden_remainder_y
      - .offset:         70
        .size:           2
        .value_kind:     hidden_remainder_z
      - .offset:         88
        .size:           8
        .value_kind:     hidden_global_offset_x
      - .offset:         96
        .size:           8
        .value_kind:     hidden_global_offset_y
      - .offset:         104
        .size:           8
        .value_kind:     hidden_global_offset_z
      - .offset:         112
        .size:           2
        .value_kind:     hidden_grid_dims
    .group_segment_fixed_size: 0
    .kernarg_segment_align: 8
    .kernarg_segment_size: 304
    .language:       OpenCL C
    .language_version:
      - 2
      - 0
    .max_flat_workgroup_size: 1024
    .name:           _Z13vector_mv_csrILi4EEvmPKmS1_PKfS3_Pf
    .private_segment_fixed_size: 0
    .sgpr_count:     20
    .sgpr_spill_count: 0
    .symbol:         _Z13vector_mv_csrILi4EEvmPKmS1_PKfS3_Pf.kd
    .uniform_work_group_size: 1
    .uses_dynamic_stack: false
    .vgpr_count:     15
    .vgpr_spill_count: 0
    .wavefront_size: 64
  - .args:
      - .offset:         0
        .size:           8
        .value_kind:     by_value
      - .address_space:  global
        .offset:         8
        .size:           8
        .value_kind:     global_buffer
      - .address_space:  global
        .offset:         16
        .size:           8
        .value_kind:     global_buffer
      - .address_space:  global
        .offset:         24
        .size:           8
        .value_kind:     global_buffer
      - .address_space:  global
        .offset:         32
        .size:           8
        .value_kind:     global_buffer
      - .address_space:  global
        .offset:         40
        .size:           8
        .value_kind:     global_buffer
      - .offset:         48
        .size:           4
        .value_kind:     hidden_block_count_x
      - .offset:         52
        .size:           4
        .value_kind:     hidden_block_count_y
      - .offset:         56
        .size:           4
        .value_kind:     hidden_block_count_z
      - .offset:         60
        .size:           2
        .value_kind:     hidden_group_size_x
      - .offset:         62
        .size:           2
        .value_kind:     hidden_group_size_y
      - .offset:         64
        .size:           2
        .value_kind:     hidden_group_size_z
      - .offset:         66
        .size:           2
        .value_kind:     hidden_remainder_x
      - .offset:         68
        .size:           2
        .value_kind:     hidden_remainder_y
      - .offset:         70
        .size:           2
        .value_kind:     hidden_remainder_z
      - .offset:         88
        .size:           8
        .value_kind:     hidden_global_offset_x
      - .offset:         96
        .size:           8
        .value_kind:     hidden_global_offset_y
      - .offset:         104
        .size:           8
        .value_kind:     hidden_global_offset_z
      - .offset:         112
        .size:           2
        .value_kind:     hidden_grid_dims
    .group_segment_fixed_size: 0
    .kernarg_segment_align: 8
    .kernarg_segment_size: 304
    .language:       OpenCL C
    .language_version:
      - 2
      - 0
    .max_flat_workgroup_size: 1024
    .name:           _Z13vector_mv_csrILi8EEvmPKmS1_PKfS3_Pf
    .private_segment_fixed_size: 0
    .sgpr_count:     20
    .sgpr_spill_count: 0
    .symbol:         _Z13vector_mv_csrILi8EEvmPKmS1_PKfS3_Pf.kd
    .uniform_work_group_size: 1
    .uses_dynamic_stack: false
    .vgpr_count:     15
    .vgpr_spill_count: 0
    .wavefront_size: 64
  - .args:
      - .offset:         0
        .size:           8
        .value_kind:     by_value
      - .address_space:  global
        .offset:         8
        .size:           8
        .value_kind:     global_buffer
      - .address_space:  global
        .offset:         16
        .size:           8
        .value_kind:     global_buffer
      - .address_space:  global
        .offset:         24
        .size:           8
        .value_kind:     global_buffer
      - .address_space:  global
        .offset:         32
        .size:           8
        .value_kind:     global_buffer
      - .address_space:  global
        .offset:         40
        .size:           8
        .value_kind:     global_buffer
      - .offset:         48
        .size:           4
        .value_kind:     hidden_block_count_x
      - .offset:         52
        .size:           4
        .value_kind:     hidden_block_count_y
      - .offset:         56
        .size:           4
        .value_kind:     hidden_block_count_z
      - .offset:         60
        .size:           2
        .value_kind:     hidden_group_size_x
      - .offset:         62
        .size:           2
        .value_kind:     hidden_group_size_y
      - .offset:         64
        .size:           2
        .value_kind:     hidden_group_size_z
      - .offset:         66
        .size:           2
        .value_kind:     hidden_remainder_x
      - .offset:         68
        .size:           2
        .value_kind:     hidden_remainder_y
      - .offset:         70
        .size:           2
        .value_kind:     hidden_remainder_z
      - .offset:         88
        .size:           8
        .value_kind:     hidden_global_offset_x
      - .offset:         96
        .size:           8
        .value_kind:     hidden_global_offset_y
      - .offset:         104
        .size:           8
        .value_kind:     hidden_global_offset_z
      - .offset:         112
        .size:           2
        .value_kind:     hidden_grid_dims
    .group_segment_fixed_size: 0
    .kernarg_segment_align: 8
    .kernarg_segment_size: 304
    .language:       OpenCL C
    .language_version:
      - 2
      - 0
    .max_flat_workgroup_size: 1024
    .name:           _Z13vector_mv_csrILi16EEvmPKmS1_PKfS3_Pf
    .private_segment_fixed_size: 0
    .sgpr_count:     20
    .sgpr_spill_count: 0
    .symbol:         _Z13vector_mv_csrILi16EEvmPKmS1_PKfS3_Pf.kd
    .uniform_work_group_size: 1
    .uses_dynamic_stack: false
    .vgpr_count:     15
    .vgpr_spill_count: 0
    .wavefront_size: 64
  - .args:
      - .offset:         0
        .size:           8
        .value_kind:     by_value
      - .address_space:  global
        .offset:         8
        .size:           8
        .value_kind:     global_buffer
      - .address_space:  global
        .offset:         16
        .size:           8
        .value_kind:     global_buffer
      - .address_space:  global
        .offset:         24
        .size:           8
        .value_kind:     global_buffer
      - .address_space:  global
        .offset:         32
        .size:           8
        .value_kind:     global_buffer
      - .address_space:  global
        .offset:         40
        .size:           8
        .value_kind:     global_buffer
      - .offset:         48
        .size:           4
        .value_kind:     hidden_block_count_x
      - .offset:         52
        .size:           4
        .value_kind:     hidden_block_count_y
      - .offset:         56
        .size:           4
        .value_kind:     hidden_block_count_z
      - .offset:         60
        .size:           2
        .value_kind:     hidden_group_size_x
      - .offset:         62
        .size:           2
        .value_kind:     hidden_group_size_y
      - .offset:         64
        .size:           2
        .value_kind:     hidden_group_size_z
      - .offset:         66
        .size:           2
        .value_kind:     hidden_remainder_x
      - .offset:         68
        .size:           2
        .value_kind:     hidden_remainder_y
      - .offset:         70
        .size:           2
        .value_kind:     hidden_remainder_z
      - .offset:         88
        .size:           8
        .value_kind:     hidden_global_offset_x
      - .offset:         96
        .size:           8
        .value_kind:     hidden_global_offset_y
      - .offset:         104
        .size:           8
        .value_kind:     hidden_global_offset_z
      - .offset:         112
        .size:           2
        .value_kind:     hidden_grid_dims
    .group_segment_fixed_size: 0
    .kernarg_segment_align: 8
    .kernarg_segment_size: 304
    .language:       OpenCL C
    .language_version:
      - 2
      - 0
    .max_flat_workgroup_size: 1024
    .name:           _Z13vector_mv_csrILi32EEvmPKmS1_PKfS3_Pf
    .private_segment_fixed_size: 0
    .sgpr_count:     20
    .sgpr_spill_count: 0
    .symbol:         _Z13vector_mv_csrILi32EEvmPKmS1_PKfS3_Pf.kd
    .uniform_work_group_size: 1
    .uses_dynamic_stack: false
    .vgpr_count:     15
    .vgpr_spill_count: 0
    .wavefront_size: 64
  - .args:
      - .offset:         0
        .size:           8
        .value_kind:     by_value
      - .address_space:  global
        .offset:         8
        .size:           8
        .value_kind:     global_buffer
      - .address_space:  global
        .offset:         16
        .size:           8
        .value_kind:     global_buffer
      - .address_space:  global
        .offset:         24
        .size:           8
        .value_kind:     global_buffer
      - .address_space:  global
        .offset:         32
        .size:           8
        .value_kind:     global_buffer
      - .address_space:  global
        .offset:         40
        .size:           8
        .value_kind:     global_buffer
      - .offset:         48
        .size:           4
        .value_kind:     hidden_block_count_x
      - .offset:         52
        .size:           4
        .value_kind:     hidden_block_count_y
      - .offset:         56
        .size:           4
        .value_kind:     hidden_block_count_z
      - .offset:         60
        .size:           2
        .value_kind:     hidden_group_size_x
      - .offset:         62
        .size:           2
        .value_kind:     hidden_group_size_y
      - .offset:         64
        .size:           2
        .value_kind:     hidden_group_size_z
      - .offset:         66
        .size:           2
        .value_kind:     hidden_remainder_x
      - .offset:         68
        .size:           2
        .value_kind:     hidden_remainder_y
      - .offset:         70
        .size:           2
        .value_kind:     hidden_remainder_z
      - .offset:         88
        .size:           8
        .value_kind:     hidden_global_offset_x
      - .offset:         96
        .size:           8
        .value_kind:     hidden_global_offset_y
      - .offset:         104
        .size:           8
        .value_kind:     hidden_global_offset_z
      - .offset:         112
        .size:           2
        .value_kind:     hidden_grid_dims
    .group_segment_fixed_size: 0
    .kernarg_segment_align: 8
    .kernarg_segment_size: 304
    .language:       OpenCL C
    .language_version:
      - 2
      - 0
    .max_flat_workgroup_size: 1024
    .name:           _Z13vector_mv_csrILi64EEvmPKmS1_PKfS3_Pf
    .private_segment_fixed_size: 0
    .sgpr_count:     20
    .sgpr_spill_count: 0
    .symbol:         _Z13vector_mv_csrILi64EEvmPKmS1_PKfS3_Pf.kd
    .uniform_work_group_size: 1
    .uses_dynamic_stack: false
    .vgpr_count:     15
    .vgpr_spill_count: 0
    .wavefront_size: 64
amdhsa.target:   amdgcn-amd-amdhsa--gfx906
amdhsa.version:
  - 1
  - 2
...

	.end_amdgpu_metadata
